;; amdgpu-corpus repo=ROCm/rocFFT kind=compiled arch=gfx1030 opt=O3
	.text
	.amdgcn_target "amdgcn-amd-amdhsa--gfx1030"
	.amdhsa_code_object_version 6
	.protected	fft_rtc_back_len1944_factors_3_3_3_3_8_3_wgs_243_tpt_243_halfLds_half_ip_CI_unitstride_sbrr_dirReg ; -- Begin function fft_rtc_back_len1944_factors_3_3_3_3_8_3_wgs_243_tpt_243_halfLds_half_ip_CI_unitstride_sbrr_dirReg
	.globl	fft_rtc_back_len1944_factors_3_3_3_3_8_3_wgs_243_tpt_243_halfLds_half_ip_CI_unitstride_sbrr_dirReg
	.p2align	8
	.type	fft_rtc_back_len1944_factors_3_3_3_3_8_3_wgs_243_tpt_243_halfLds_half_ip_CI_unitstride_sbrr_dirReg,@function
fft_rtc_back_len1944_factors_3_3_3_3_8_3_wgs_243_tpt_243_halfLds_half_ip_CI_unitstride_sbrr_dirReg: ; @fft_rtc_back_len1944_factors_3_3_3_3_8_3_wgs_243_tpt_243_halfLds_half_ip_CI_unitstride_sbrr_dirReg
; %bb.0:
	s_clause 0x2
	s_load_dwordx4 s[8:11], s[4:5], 0x0
	s_load_dwordx2 s[2:3], s[4:5], 0x50
	s_load_dwordx2 s[12:13], s[4:5], 0x18
	v_mul_u32_u24_e32 v1, 0x10e, v0
	v_mov_b32_e32 v3, 0
	v_add_nc_u32_sdwa v5, s6, v1 dst_sel:DWORD dst_unused:UNUSED_PAD src0_sel:DWORD src1_sel:WORD_1
	v_mov_b32_e32 v1, 0
	v_mov_b32_e32 v6, v3
	v_mov_b32_e32 v2, 0
	s_waitcnt lgkmcnt(0)
	v_cmp_lt_u64_e64 s0, s[10:11], 2
	s_and_b32 vcc_lo, exec_lo, s0
	s_cbranch_vccnz .LBB0_8
; %bb.1:
	s_load_dwordx2 s[0:1], s[4:5], 0x10
	v_mov_b32_e32 v1, 0
	s_add_u32 s6, s12, 8
	v_mov_b32_e32 v2, 0
	s_addc_u32 s7, s13, 0
	s_mov_b64 s[16:17], 1
	s_waitcnt lgkmcnt(0)
	s_add_u32 s14, s0, 8
	s_addc_u32 s15, s1, 0
.LBB0_2:                                ; =>This Inner Loop Header: Depth=1
	s_load_dwordx2 s[18:19], s[14:15], 0x0
                                        ; implicit-def: $vgpr7_vgpr8
	s_mov_b32 s0, exec_lo
	s_waitcnt lgkmcnt(0)
	v_or_b32_e32 v4, s19, v6
	v_cmpx_ne_u64_e32 0, v[3:4]
	s_xor_b32 s1, exec_lo, s0
	s_cbranch_execz .LBB0_4
; %bb.3:                                ;   in Loop: Header=BB0_2 Depth=1
	v_cvt_f32_u32_e32 v4, s18
	v_cvt_f32_u32_e32 v7, s19
	s_sub_u32 s0, 0, s18
	s_subb_u32 s20, 0, s19
	v_fmac_f32_e32 v4, 0x4f800000, v7
	v_rcp_f32_e32 v4, v4
	v_mul_f32_e32 v4, 0x5f7ffffc, v4
	v_mul_f32_e32 v7, 0x2f800000, v4
	v_trunc_f32_e32 v7, v7
	v_fmac_f32_e32 v4, 0xcf800000, v7
	v_cvt_u32_f32_e32 v7, v7
	v_cvt_u32_f32_e32 v4, v4
	v_mul_lo_u32 v8, s0, v7
	v_mul_hi_u32 v9, s0, v4
	v_mul_lo_u32 v10, s20, v4
	v_add_nc_u32_e32 v8, v9, v8
	v_mul_lo_u32 v9, s0, v4
	v_add_nc_u32_e32 v8, v8, v10
	v_mul_hi_u32 v10, v4, v9
	v_mul_lo_u32 v11, v4, v8
	v_mul_hi_u32 v12, v4, v8
	v_mul_hi_u32 v13, v7, v9
	v_mul_lo_u32 v9, v7, v9
	v_mul_hi_u32 v14, v7, v8
	v_mul_lo_u32 v8, v7, v8
	v_add_co_u32 v10, vcc_lo, v10, v11
	v_add_co_ci_u32_e32 v11, vcc_lo, 0, v12, vcc_lo
	v_add_co_u32 v9, vcc_lo, v10, v9
	v_add_co_ci_u32_e32 v9, vcc_lo, v11, v13, vcc_lo
	v_add_co_ci_u32_e32 v10, vcc_lo, 0, v14, vcc_lo
	v_add_co_u32 v8, vcc_lo, v9, v8
	v_add_co_ci_u32_e32 v9, vcc_lo, 0, v10, vcc_lo
	v_add_co_u32 v4, vcc_lo, v4, v8
	v_add_co_ci_u32_e32 v7, vcc_lo, v7, v9, vcc_lo
	v_mul_hi_u32 v8, s0, v4
	v_mul_lo_u32 v10, s20, v4
	v_mul_lo_u32 v9, s0, v7
	v_add_nc_u32_e32 v8, v8, v9
	v_mul_lo_u32 v9, s0, v4
	v_add_nc_u32_e32 v8, v8, v10
	v_mul_hi_u32 v10, v4, v9
	v_mul_lo_u32 v11, v4, v8
	v_mul_hi_u32 v12, v4, v8
	v_mul_hi_u32 v13, v7, v9
	v_mul_lo_u32 v9, v7, v9
	v_mul_hi_u32 v14, v7, v8
	v_mul_lo_u32 v8, v7, v8
	v_add_co_u32 v10, vcc_lo, v10, v11
	v_add_co_ci_u32_e32 v11, vcc_lo, 0, v12, vcc_lo
	v_add_co_u32 v9, vcc_lo, v10, v9
	v_add_co_ci_u32_e32 v9, vcc_lo, v11, v13, vcc_lo
	v_add_co_ci_u32_e32 v10, vcc_lo, 0, v14, vcc_lo
	v_add_co_u32 v8, vcc_lo, v9, v8
	v_add_co_ci_u32_e32 v9, vcc_lo, 0, v10, vcc_lo
	v_add_co_u32 v4, vcc_lo, v4, v8
	v_add_co_ci_u32_e32 v11, vcc_lo, v7, v9, vcc_lo
	v_mul_hi_u32 v13, v5, v4
	v_mad_u64_u32 v[9:10], null, v6, v4, 0
	v_mad_u64_u32 v[7:8], null, v5, v11, 0
	;; [unrolled: 1-line block ×3, first 2 shown]
	v_add_co_u32 v4, vcc_lo, v13, v7
	v_add_co_ci_u32_e32 v7, vcc_lo, 0, v8, vcc_lo
	v_add_co_u32 v4, vcc_lo, v4, v9
	v_add_co_ci_u32_e32 v4, vcc_lo, v7, v10, vcc_lo
	v_add_co_ci_u32_e32 v7, vcc_lo, 0, v12, vcc_lo
	v_add_co_u32 v4, vcc_lo, v4, v11
	v_add_co_ci_u32_e32 v9, vcc_lo, 0, v7, vcc_lo
	v_mul_lo_u32 v10, s19, v4
	v_mad_u64_u32 v[7:8], null, s18, v4, 0
	v_mul_lo_u32 v11, s18, v9
	v_sub_co_u32 v7, vcc_lo, v5, v7
	v_add3_u32 v8, v8, v11, v10
	v_sub_nc_u32_e32 v10, v6, v8
	v_subrev_co_ci_u32_e64 v10, s0, s19, v10, vcc_lo
	v_add_co_u32 v11, s0, v4, 2
	v_add_co_ci_u32_e64 v12, s0, 0, v9, s0
	v_sub_co_u32 v13, s0, v7, s18
	v_sub_co_ci_u32_e32 v8, vcc_lo, v6, v8, vcc_lo
	v_subrev_co_ci_u32_e64 v10, s0, 0, v10, s0
	v_cmp_le_u32_e32 vcc_lo, s18, v13
	v_cmp_eq_u32_e64 s0, s19, v8
	v_cndmask_b32_e64 v13, 0, -1, vcc_lo
	v_cmp_le_u32_e32 vcc_lo, s19, v10
	v_cndmask_b32_e64 v14, 0, -1, vcc_lo
	v_cmp_le_u32_e32 vcc_lo, s18, v7
	;; [unrolled: 2-line block ×3, first 2 shown]
	v_cndmask_b32_e64 v15, 0, -1, vcc_lo
	v_cmp_eq_u32_e32 vcc_lo, s19, v10
	v_cndmask_b32_e64 v7, v15, v7, s0
	v_cndmask_b32_e32 v10, v14, v13, vcc_lo
	v_add_co_u32 v13, vcc_lo, v4, 1
	v_add_co_ci_u32_e32 v14, vcc_lo, 0, v9, vcc_lo
	v_cmp_ne_u32_e32 vcc_lo, 0, v10
	v_cndmask_b32_e32 v8, v14, v12, vcc_lo
	v_cndmask_b32_e32 v10, v13, v11, vcc_lo
	v_cmp_ne_u32_e32 vcc_lo, 0, v7
	v_cndmask_b32_e32 v8, v9, v8, vcc_lo
	v_cndmask_b32_e32 v7, v4, v10, vcc_lo
.LBB0_4:                                ;   in Loop: Header=BB0_2 Depth=1
	s_andn2_saveexec_b32 s0, s1
	s_cbranch_execz .LBB0_6
; %bb.5:                                ;   in Loop: Header=BB0_2 Depth=1
	v_cvt_f32_u32_e32 v4, s18
	s_sub_i32 s1, 0, s18
	v_rcp_iflag_f32_e32 v4, v4
	v_mul_f32_e32 v4, 0x4f7ffffe, v4
	v_cvt_u32_f32_e32 v4, v4
	v_mul_lo_u32 v7, s1, v4
	v_mul_hi_u32 v7, v4, v7
	v_add_nc_u32_e32 v4, v4, v7
	v_mul_hi_u32 v4, v5, v4
	v_mul_lo_u32 v7, v4, s18
	v_add_nc_u32_e32 v8, 1, v4
	v_sub_nc_u32_e32 v7, v5, v7
	v_subrev_nc_u32_e32 v9, s18, v7
	v_cmp_le_u32_e32 vcc_lo, s18, v7
	v_cndmask_b32_e32 v7, v7, v9, vcc_lo
	v_cndmask_b32_e32 v4, v4, v8, vcc_lo
	v_cmp_le_u32_e32 vcc_lo, s18, v7
	v_add_nc_u32_e32 v8, 1, v4
	v_cndmask_b32_e32 v7, v4, v8, vcc_lo
	v_mov_b32_e32 v8, v3
.LBB0_6:                                ;   in Loop: Header=BB0_2 Depth=1
	s_or_b32 exec_lo, exec_lo, s0
	s_load_dwordx2 s[0:1], s[6:7], 0x0
	v_mul_lo_u32 v4, v8, s18
	v_mul_lo_u32 v11, v7, s19
	v_mad_u64_u32 v[9:10], null, v7, s18, 0
	s_add_u32 s16, s16, 1
	s_addc_u32 s17, s17, 0
	s_add_u32 s6, s6, 8
	s_addc_u32 s7, s7, 0
	;; [unrolled: 2-line block ×3, first 2 shown]
	v_add3_u32 v4, v10, v11, v4
	v_sub_co_u32 v5, vcc_lo, v5, v9
	v_sub_co_ci_u32_e32 v4, vcc_lo, v6, v4, vcc_lo
	s_waitcnt lgkmcnt(0)
	v_mul_lo_u32 v6, s1, v5
	v_mul_lo_u32 v4, s0, v4
	v_mad_u64_u32 v[1:2], null, s0, v5, v[1:2]
	v_cmp_ge_u64_e64 s0, s[16:17], s[10:11]
	s_and_b32 vcc_lo, exec_lo, s0
	v_add3_u32 v2, v6, v2, v4
	s_cbranch_vccnz .LBB0_9
; %bb.7:                                ;   in Loop: Header=BB0_2 Depth=1
	v_mov_b32_e32 v5, v7
	v_mov_b32_e32 v6, v8
	s_branch .LBB0_2
.LBB0_8:
	v_mov_b32_e32 v8, v6
	v_mov_b32_e32 v7, v5
.LBB0_9:
	s_lshl_b64 s[0:1], s[10:11], 3
	v_mul_hi_u32 v5, 0x10db20b, v0
	s_add_u32 s0, s12, s0
	s_addc_u32 s1, s13, s1
                                        ; implicit-def: $vgpr26
                                        ; implicit-def: $vgpr20
                                        ; implicit-def: $vgpr9
                                        ; implicit-def: $vgpr21
                                        ; implicit-def: $vgpr15
                                        ; implicit-def: $vgpr27
                                        ; implicit-def: $vgpr11
                                        ; implicit-def: $vgpr25
                                        ; implicit-def: $vgpr13
                                        ; implicit-def: $vgpr12
                                        ; implicit-def: $vgpr10
                                        ; implicit-def: $vgpr24
                                        ; implicit-def: $vgpr14
                                        ; implicit-def: $vgpr22
                                        ; implicit-def: $vgpr23
	s_load_dwordx2 s[0:1], s[0:1], 0x0
	s_load_dwordx2 s[4:5], s[4:5], 0x20
	s_waitcnt lgkmcnt(0)
	v_mul_lo_u32 v3, s0, v8
	v_mul_lo_u32 v4, s1, v7
	v_mad_u64_u32 v[1:2], null, s0, v7, v[1:2]
	v_cmp_gt_u64_e32 vcc_lo, s[4:5], v[7:8]
                                        ; implicit-def: $vgpr8
	v_add3_u32 v2, v4, v2, v3
	v_mul_u32_u24_e32 v3, 0xf3, v5
                                        ; implicit-def: $vgpr5
	v_lshlrev_b64 v[6:7], 2, v[1:2]
	v_sub_nc_u32_e32 v4, v0, v3
                                        ; implicit-def: $vgpr0
	s_and_saveexec_b32 s1, vcc_lo
	s_cbranch_execz .LBB0_13
; %bb.10:
	v_mov_b32_e32 v5, 0
	v_add_co_u32 v2, s0, s2, v6
	v_add_co_ci_u32_e64 v3, s0, s3, v7, s0
	v_lshlrev_b64 v[0:1], 2, v[4:5]
	s_mov_b32 s4, exec_lo
                                        ; implicit-def: $vgpr23
                                        ; implicit-def: $vgpr22
                                        ; implicit-def: $vgpr24
                                        ; implicit-def: $vgpr10
                                        ; implicit-def: $vgpr12
	v_add_co_u32 v0, s0, v2, v0
	v_add_co_ci_u32_e64 v1, s0, v3, v1, s0
	v_add_co_u32 v2, s0, 0x1000, v0
	v_add_co_ci_u32_e64 v3, s0, 0, v1, s0
	;; [unrolled: 2-line block ×4, first 2 shown]
	s_clause 0x5
	global_load_dword v5, v[0:1], off
	global_load_dword v13, v[8:9], off offset:12
	global_load_dword v21, v[2:3], off offset:1088
	;; [unrolled: 1-line block ×5, first 2 shown]
                                        ; implicit-def: $vgpr14
	v_cmpx_gt_u32_e32 0xa2, v4
	s_cbranch_execz .LBB0_12
; %bb.11:
	s_clause 0x2
	global_load_dword v10, v[0:1], off offset:1944
	global_load_dword v14, v[2:3], off offset:440
	;; [unrolled: 1-line block ×3, first 2 shown]
	s_waitcnt vmcnt(2)
	v_lshrrev_b32_e32 v12, 16, v10
	s_waitcnt vmcnt(1)
	v_lshrrev_b32_e32 v24, 16, v14
	;; [unrolled: 2-line block ×3, first 2 shown]
.LBB0_12:
	s_or_b32 exec_lo, exec_lo, s4
	s_waitcnt vmcnt(5)
	v_lshrrev_b32_e32 v0, 16, v5
	s_waitcnt vmcnt(1)
	v_lshrrev_b32_e32 v26, 16, v20
	v_lshrrev_b32_e32 v9, 16, v21
	s_waitcnt vmcnt(0)
	v_lshrrev_b32_e32 v8, 16, v15
	v_lshrrev_b32_e32 v27, 16, v11
	;; [unrolled: 1-line block ×3, first 2 shown]
.LBB0_13:
	s_or_b32 exec_lo, exec_lo, s1
	v_add_f16_e32 v1, v20, v21
	v_add_f16_e32 v2, v5, v20
	v_sub_f16_e32 v3, v26, v9
	v_add_f16_e32 v16, v11, v13
	v_add_f16_e32 v17, v14, v23
	v_fmac_f16_e32 v5, -0.5, v1
	v_add_f16_e32 v1, v15, v11
	v_add_f16_e32 v18, v2, v21
	v_fmac_f16_e32 v15, -0.5, v16
	v_sub_f16_e32 v2, v27, v25
	v_fmamk_f16 v16, v3, 0xbaee, v5
	v_fmac_f16_e32 v5, 0x3aee, v3
	v_add_f16_e32 v3, v1, v13
	v_add_f16_e32 v1, v10, v14
	v_fmac_f16_e32 v10, -0.5, v17
	v_sub_f16_e32 v17, v24, v22
	v_fmamk_f16 v19, v2, 0xbaee, v15
	v_mad_u32_u24 v28, v4, 6, 0
	v_fmac_f16_e32 v15, 0x3aee, v2
	v_add_f16_e32 v2, v1, v23
	v_fmamk_f16 v1, v17, 0xbaee, v10
	v_fmac_f16_e32 v10, 0x3aee, v17
	v_cmp_gt_u32_e64 s0, 0xa2, v4
	ds_write_b16 v28, v18
	ds_write_b16 v28, v16 offset:2
	ds_write_b16 v28, v5 offset:4
	;; [unrolled: 1-line block ×5, first 2 shown]
	s_and_saveexec_b32 s1, s0
	s_cbranch_execz .LBB0_15
; %bb.14:
	ds_write_b16 v28, v2 offset:2916
	ds_write_b16 v28, v1 offset:2918
	;; [unrolled: 1-line block ×3, first 2 shown]
.LBB0_15:
	s_or_b32 exec_lo, exec_lo, s1
	v_lshlrev_b32_e32 v3, 2, v4
	s_waitcnt lgkmcnt(0)
	s_barrier
	buffer_gl0_inv
	v_sub_nc_u32_e32 v5, v28, v3
	ds_read_u16 v3, v5
	ds_read_u16 v15, v5 offset:3078
	ds_read_u16 v18, v5 offset:2592
	;; [unrolled: 1-line block ×5, first 2 shown]
	s_and_saveexec_b32 s1, s0
	s_cbranch_execz .LBB0_17
; %bb.16:
	ds_read_u16 v2, v5 offset:972
	ds_read_u16 v1, v5 offset:2268
	;; [unrolled: 1-line block ×3, first 2 shown]
.LBB0_17:
	s_or_b32 exec_lo, exec_lo, s1
	v_add_f16_e32 v29, v26, v9
	v_add_f16_e32 v26, v0, v26
	v_sub_f16_e32 v20, v20, v21
	v_add_f16_e32 v21, v27, v25
	v_add_f16_e32 v27, v8, v27
	v_fmac_f16_e32 v0, -0.5, v29
	v_add_f16_e32 v29, v24, v22
	v_sub_f16_e32 v11, v11, v13
	v_fmac_f16_e32 v8, -0.5, v21
	v_add_f16_e32 v13, v12, v24
	v_sub_f16_e32 v14, v14, v23
	v_fmac_f16_e32 v12, -0.5, v29
	v_add_f16_e32 v9, v26, v9
	v_fmamk_f16 v21, v20, 0x3aee, v0
	v_fmac_f16_e32 v0, 0xbaee, v20
	v_fmamk_f16 v24, v11, 0x3aee, v8
	v_fmac_f16_e32 v8, 0xbaee, v11
	v_add_f16_e32 v11, v13, v22
	v_fmamk_f16 v20, v14, 0x3aee, v12
	v_fmac_f16_e32 v12, 0xbaee, v14
	v_add_f16_e32 v23, v27, v25
	s_waitcnt lgkmcnt(0)
	s_barrier
	buffer_gl0_inv
	ds_write_b16 v28, v9
	ds_write_b16 v28, v21 offset:2
	ds_write_b16 v28, v0 offset:4
	;; [unrolled: 1-line block ×5, first 2 shown]
	s_and_saveexec_b32 s1, s0
	s_cbranch_execz .LBB0_19
; %bb.18:
	ds_write_b16 v28, v11 offset:2916
	ds_write_b16 v28, v20 offset:2918
	;; [unrolled: 1-line block ×3, first 2 shown]
.LBB0_19:
	s_or_b32 exec_lo, exec_lo, s1
	s_waitcnt lgkmcnt(0)
	s_barrier
	buffer_gl0_inv
	ds_read_u16 v13, v5
	ds_read_u16 v21, v5 offset:3078
	ds_read_u16 v25, v5 offset:2592
	;; [unrolled: 1-line block ×5, first 2 shown]
	s_and_saveexec_b32 s1, s0
	s_cbranch_execz .LBB0_21
; %bb.20:
	ds_read_u16 v11, v5 offset:972
	ds_read_u16 v20, v5 offset:2268
	;; [unrolled: 1-line block ×3, first 2 shown]
.LBB0_21:
	s_or_b32 exec_lo, exec_lo, s1
	v_and_b32_e32 v0, 0xff, v4
	v_add_nc_u32_e32 v8, 0xf3, v4
	v_mov_b32_e32 v22, 0xaaab
	v_add_nc_u32_e32 v9, 0x1e6, v4
	v_mov_b32_e32 v29, 3
	v_mul_lo_u16 v24, 0xab, v0
	v_mov_b32_e32 v37, 1
	v_mul_u32_u24_sdwa v27, v8, v22 dst_sel:DWORD dst_unused:UNUSED_PAD src0_sel:WORD_0 src1_sel:DWORD
	v_mul_u32_u24_sdwa v22, v9, v22 dst_sel:DWORD dst_unused:UNUSED_PAD src0_sel:WORD_0 src1_sel:DWORD
	v_lshrrev_b16 v24, 9, v24
	v_lshrrev_b32_e32 v27, 17, v27
	v_lshrrev_b32_e32 v30, 17, v22
	v_mul_lo_u16 v28, v24, 3
	v_mul_lo_u16 v22, v27, 3
	;; [unrolled: 1-line block ×3, first 2 shown]
	v_mul_u32_u24_e32 v27, 18, v27
	v_sub_nc_u16 v28, v4, v28
	v_sub_nc_u16 v32, v8, v22
	;; [unrolled: 1-line block ×3, first 2 shown]
	v_lshlrev_b32_sdwa v33, v29, v28 dst_sel:DWORD dst_unused:UNUSED_PAD src0_sel:DWORD src1_sel:BYTE_0
	v_lshlrev_b32_sdwa v28, v37, v28 dst_sel:DWORD dst_unused:UNUSED_PAD src0_sel:DWORD src1_sel:BYTE_0
	v_lshlrev_b32_sdwa v31, v29, v32 dst_sel:DWORD dst_unused:UNUSED_PAD src0_sel:DWORD src1_sel:WORD_0
	v_lshlrev_b32_sdwa v29, v29, v22 dst_sel:DWORD dst_unused:UNUSED_PAD src0_sel:DWORD src1_sel:WORD_0
	s_clause 0x2
	global_load_dwordx2 v[38:39], v33, s[8:9]
	global_load_dwordx2 v[40:41], v31, s[8:9]
	;; [unrolled: 1-line block ×3, first 2 shown]
	v_mov_b32_e32 v29, 18
	s_waitcnt vmcnt(0) lgkmcnt(0)
	s_barrier
	buffer_gl0_inv
	v_mul_u32_u24_sdwa v29, v24, v29 dst_sel:DWORD dst_unused:UNUSED_PAD src0_sel:WORD_0 src1_sel:DWORD
	v_mul_lo_u16 v24, v30, 9
	v_lshlrev_b32_sdwa v30, v37, v32 dst_sel:DWORD dst_unused:UNUSED_PAD src0_sel:DWORD src1_sel:WORD_0
	v_add3_u32 v28, 0, v29, v28
	v_add3_u32 v27, 0, v27, v30
	v_mul_f16_sdwa v33, v26, v38 dst_sel:DWORD dst_unused:UNUSED_PAD src0_sel:DWORD src1_sel:WORD_1
	v_mul_f16_sdwa v34, v25, v39 dst_sel:DWORD dst_unused:UNUSED_PAD src0_sel:DWORD src1_sel:WORD_1
	;; [unrolled: 1-line block ×11, first 2 shown]
	v_fmac_f16_e32 v30, v1, v42
	v_fmac_f16_e32 v32, v10, v43
	v_mul_f16_sdwa v44, v18, v39 dst_sel:DWORD dst_unused:UNUSED_PAD src0_sel:DWORD src1_sel:WORD_1
	v_fmac_f16_e32 v33, v19, v38
	v_fmac_f16_e32 v34, v18, v39
	;; [unrolled: 1-line block ×4, first 2 shown]
	v_fma_f16 v36, v26, v38, -v35
	v_fma_f16 v35, v23, v40, -v45
	;; [unrolled: 1-line block ×5, first 2 shown]
	v_add_f16_e32 v21, v30, v32
	v_fma_f16 v25, v25, v39, -v44
	v_add_f16_e32 v10, v33, v34
	v_add_f16_e32 v18, v29, v31
	v_add_f16_e32 v1, v3, v33
	v_add_f16_e32 v15, v16, v29
	v_add_f16_e32 v20, v2, v30
	v_sub_f16_e32 v38, v26, v23
	v_fmac_f16_e32 v2, -0.5, v21
	v_sub_f16_e32 v12, v36, v25
	v_fmac_f16_e32 v3, -0.5, v10
	v_sub_f16_e32 v19, v35, v17
	v_fmac_f16_e32 v16, -0.5, v18
	v_add_f16_e32 v39, v1, v34
	v_add_f16_e32 v10, v15, v31
	v_add_f16_e32 v1, v20, v32
	v_fmamk_f16 v15, v38, 0xbaee, v2
	v_fmac_f16_e32 v2, 0x3aee, v38
	v_fmamk_f16 v18, v12, 0xbaee, v3
	v_fmac_f16_e32 v3, 0x3aee, v12
	v_fmamk_f16 v12, v19, 0xbaee, v16
	v_fmac_f16_e32 v16, 0x3aee, v19
	ds_write_b16 v28, v39
	ds_write_b16 v28, v18 offset:6
	ds_write_b16 v28, v3 offset:12
	ds_write_b16 v27, v10
	ds_write_b16 v27, v12 offset:6
	ds_write_b16 v27, v16 offset:12
	s_and_saveexec_b32 s1, s0
	s_cbranch_execz .LBB0_23
; %bb.22:
	v_lshlrev_b32_sdwa v3, v37, v22 dst_sel:DWORD dst_unused:UNUSED_PAD src0_sel:DWORD src1_sel:WORD_0
	v_lshlrev_b32_sdwa v10, v37, v24 dst_sel:DWORD dst_unused:UNUSED_PAD src0_sel:DWORD src1_sel:WORD_0
	v_add3_u32 v3, 0, v3, v10
	ds_write_b16 v3, v1
	ds_write_b16 v3, v15 offset:6
	ds_write_b16 v3, v2 offset:12
.LBB0_23:
	s_or_b32 exec_lo, exec_lo, s1
	s_waitcnt lgkmcnt(0)
	s_barrier
	buffer_gl0_inv
	ds_read_u16 v12, v5
	ds_read_u16 v18, v5 offset:3078
	ds_read_u16 v20, v5 offset:2592
	;; [unrolled: 1-line block ×5, first 2 shown]
	v_lshl_add_u32 v10, v4, 1, 0
	s_and_saveexec_b32 s1, s0
	s_cbranch_execz .LBB0_25
; %bb.24:
	ds_read_u16 v15, v5 offset:2268
	ds_read_u16 v1, v10 offset:972
	;; [unrolled: 1-line block ×3, first 2 shown]
.LBB0_25:
	s_or_b32 exec_lo, exec_lo, s1
	v_add_f16_e32 v3, v36, v25
	v_add_f16_e32 v36, v13, v36
	v_sub_f16_e32 v33, v33, v34
	v_add_f16_e32 v34, v35, v17
	v_sub_f16_e32 v30, v30, v32
	v_fmac_f16_e32 v13, -0.5, v3
	v_add_f16_e32 v3, v14, v35
	v_add_f16_e32 v35, v26, v23
	;; [unrolled: 1-line block ×3, first 2 shown]
	v_fmac_f16_e32 v14, -0.5, v34
	v_sub_f16_e32 v29, v29, v31
	v_add_f16_e32 v25, v36, v25
	v_fmac_f16_e32 v11, -0.5, v35
	v_add_f16_e32 v17, v3, v17
	v_add_f16_e32 v3, v26, v23
	v_fmamk_f16 v34, v33, 0x3aee, v13
	v_fmac_f16_e32 v13, 0xbaee, v33
	v_fmamk_f16 v23, v30, 0x3aee, v11
	v_fmac_f16_e32 v11, 0xbaee, v30
	;; [unrolled: 2-line block ×3, first 2 shown]
	s_waitcnt lgkmcnt(0)
	s_barrier
	buffer_gl0_inv
	ds_write_b16 v28, v25
	ds_write_b16 v28, v34 offset:6
	ds_write_b16 v28, v13 offset:12
	ds_write_b16 v27, v17
	ds_write_b16 v27, v31 offset:6
	ds_write_b16 v27, v14 offset:12
	s_and_saveexec_b32 s1, s0
	s_cbranch_execz .LBB0_27
; %bb.26:
	v_mov_b32_e32 v13, 1
	v_lshlrev_b32_sdwa v14, v13, v22 dst_sel:DWORD dst_unused:UNUSED_PAD src0_sel:DWORD src1_sel:WORD_0
	v_lshlrev_b32_sdwa v13, v13, v24 dst_sel:DWORD dst_unused:UNUSED_PAD src0_sel:DWORD src1_sel:WORD_0
	v_add3_u32 v13, 0, v14, v13
	ds_write_b16 v13, v3
	ds_write_b16 v13, v23 offset:6
	ds_write_b16 v13, v11 offset:12
.LBB0_27:
	s_or_b32 exec_lo, exec_lo, s1
	s_waitcnt lgkmcnt(0)
	s_barrier
	buffer_gl0_inv
	ds_read_u16 v14, v5
	ds_read_u16 v13, v5 offset:3078
	ds_read_u16 v27, v5 offset:2592
	;; [unrolled: 1-line block ×5, first 2 shown]
	s_and_saveexec_b32 s1, s0
	s_cbranch_execz .LBB0_29
; %bb.28:
	ds_read_u16 v23, v5 offset:2268
	ds_read_u16 v3, v10 offset:972
	;; [unrolled: 1-line block ×3, first 2 shown]
.LBB0_29:
	s_or_b32 exec_lo, exec_lo, s1
	v_mul_lo_u16 v22, v0, 57
	v_mov_b32_e32 v24, 0xe38f
	v_mov_b32_e32 v32, 3
	;; [unrolled: 1-line block ×3, first 2 shown]
	v_lshrrev_b16 v26, 9, v22
	v_mul_u32_u24_sdwa v22, v8, v24 dst_sel:DWORD dst_unused:UNUSED_PAD src0_sel:WORD_0 src1_sel:DWORD
	v_mul_u32_u24_sdwa v24, v9, v24 dst_sel:DWORD dst_unused:UNUSED_PAD src0_sel:WORD_0 src1_sel:DWORD
	v_mul_lo_u16 v28, v26, 9
	v_lshrrev_b32_e32 v33, 19, v22
	v_lshrrev_b32_e32 v24, 19, v24
	v_sub_nc_u16 v28, v4, v28
	v_mul_lo_u16 v22, v33, 9
	v_mul_lo_u16 v34, v24, 9
	;; [unrolled: 1-line block ×3, first 2 shown]
	v_lshlrev_b32_sdwa v30, v32, v28 dst_sel:DWORD dst_unused:UNUSED_PAD src0_sel:DWORD src1_sel:BYTE_0
	v_sub_nc_u16 v35, v8, v22
	v_sub_nc_u16 v22, v9, v34
	v_lshlrev_b32_sdwa v28, v36, v28 dst_sel:DWORD dst_unused:UNUSED_PAD src0_sel:DWORD src1_sel:BYTE_0
	global_load_dwordx2 v[30:31], v30, s[8:9] offset:24
	v_lshlrev_b32_sdwa v34, v32, v35 dst_sel:DWORD dst_unused:UNUSED_PAD src0_sel:DWORD src1_sel:WORD_0
	v_lshlrev_b32_sdwa v32, v32, v22 dst_sel:DWORD dst_unused:UNUSED_PAD src0_sel:DWORD src1_sel:WORD_0
	;; [unrolled: 1-line block ×3, first 2 shown]
	s_clause 0x1
	global_load_dwordx2 v[37:38], v34, s[8:9] offset:24
	global_load_dwordx2 v[39:40], v32, s[8:9] offset:24
	v_mov_b32_e32 v32, 54
	v_mul_u32_u24_e32 v34, 54, v33
	s_waitcnt vmcnt(0) lgkmcnt(0)
	s_barrier
	buffer_gl0_inv
	v_mul_u32_u24_sdwa v26, v26, v32 dst_sel:DWORD dst_unused:UNUSED_PAD src0_sel:WORD_0 src1_sel:DWORD
	v_add3_u32 v26, 0, v26, v28
	v_add3_u32 v28, 0, v34, v35
	v_mul_f16_sdwa v32, v29, v30 dst_sel:DWORD dst_unused:UNUSED_PAD src0_sel:DWORD src1_sel:WORD_1
	v_mul_f16_sdwa v41, v21, v30 dst_sel:DWORD dst_unused:UNUSED_PAD src0_sel:DWORD src1_sel:WORD_1
	;; [unrolled: 1-line block ×4, first 2 shown]
	v_fmac_f16_e32 v32, v21, v30
	v_fma_f16 v34, v29, v30, -v41
	v_fmac_f16_e32 v33, v20, v31
	v_fma_f16 v31, v27, v31, -v42
	v_mul_f16_sdwa v27, v23, v39 dst_sel:DWORD dst_unused:UNUSED_PAD src0_sel:DWORD src1_sel:WORD_1
	v_mul_f16_sdwa v30, v11, v40 dst_sel:DWORD dst_unused:UNUSED_PAD src0_sel:DWORD src1_sel:WORD_1
	;; [unrolled: 1-line block ×7, first 2 shown]
	v_fmac_f16_e32 v27, v15, v39
	v_fmac_f16_e32 v30, v2, v40
	v_mul_f16_sdwa v41, v18, v38 dst_sel:DWORD dst_unused:UNUSED_PAD src0_sel:DWORD src1_sel:WORD_1
	v_fmac_f16_e32 v21, v19, v37
	v_fmac_f16_e32 v29, v18, v38
	v_add_f16_e32 v18, v32, v33
	v_fma_f16 v35, v25, v37, -v20
	v_fma_f16 v25, v23, v39, -v42
	v_add_f16_e32 v15, v12, v32
	v_fma_f16 v23, v11, v40, -v43
	v_add_f16_e32 v37, v27, v30
	v_fma_f16 v13, v13, v38, -v41
	v_fmac_f16_e32 v12, -0.5, v18
	v_add_f16_e32 v18, v21, v29
	v_sub_f16_e32 v2, v34, v31
	v_add_f16_e32 v11, v15, v33
	v_add_f16_e32 v20, v1, v27
	v_sub_f16_e32 v38, v25, v23
	v_fmac_f16_e32 v1, -0.5, v37
	v_add_f16_e32 v15, v16, v21
	v_sub_f16_e32 v19, v35, v13
	v_fmac_f16_e32 v16, -0.5, v18
	v_fmamk_f16 v39, v2, 0xbaee, v12
	v_fmac_f16_e32 v12, 0x3aee, v2
	v_add_f16_e32 v2, v20, v30
	ds_write_b16 v26, v11
	v_fmamk_f16 v11, v38, 0xbaee, v1
	v_fmac_f16_e32 v1, 0x3aee, v38
	v_add_f16_e32 v15, v15, v29
	v_fmamk_f16 v18, v19, 0xbaee, v16
	v_fmac_f16_e32 v16, 0x3aee, v19
	ds_write_b16 v26, v39 offset:18
	ds_write_b16 v26, v12 offset:36
	ds_write_b16 v28, v15
	ds_write_b16 v28, v18 offset:18
	ds_write_b16 v28, v16 offset:36
	s_and_saveexec_b32 s1, s0
	s_cbranch_execz .LBB0_31
; %bb.30:
	v_lshlrev_b32_sdwa v12, v36, v22 dst_sel:DWORD dst_unused:UNUSED_PAD src0_sel:DWORD src1_sel:WORD_0
	v_lshlrev_b32_sdwa v15, v36, v24 dst_sel:DWORD dst_unused:UNUSED_PAD src0_sel:DWORD src1_sel:WORD_0
	v_add3_u32 v12, 0, v12, v15
	ds_write_b16 v12, v2
	ds_write_b16 v12, v11 offset:18
	ds_write_b16 v12, v1 offset:36
.LBB0_31:
	s_or_b32 exec_lo, exec_lo, s1
	s_waitcnt lgkmcnt(0)
	s_barrier
	buffer_gl0_inv
	ds_read_u16 v12, v5
	ds_read_u16 v16, v5 offset:3078
	ds_read_u16 v19, v5 offset:2592
	;; [unrolled: 1-line block ×5, first 2 shown]
	s_and_saveexec_b32 s1, s0
	s_cbranch_execz .LBB0_33
; %bb.32:
	ds_read_u16 v11, v5 offset:2268
	ds_read_u16 v2, v10 offset:972
	;; [unrolled: 1-line block ×3, first 2 shown]
.LBB0_33:
	s_or_b32 exec_lo, exec_lo, s1
	v_add_f16_e32 v36, v34, v31
	v_add_f16_e32 v34, v14, v34
	v_sub_f16_e32 v32, v32, v33
	v_add_f16_e32 v33, v35, v13
	v_add_f16_e32 v35, v17, v35
	v_fmac_f16_e32 v14, -0.5, v36
	v_add_f16_e32 v36, v25, v23
	v_sub_f16_e32 v21, v21, v29
	v_fmac_f16_e32 v17, -0.5, v33
	v_add_f16_e32 v25, v3, v25
	v_sub_f16_e32 v27, v27, v30
	v_fmac_f16_e32 v3, -0.5, v36
	v_add_f16_e32 v31, v34, v31
	v_add_f16_e32 v29, v35, v13
	v_fmamk_f16 v30, v21, 0x3aee, v17
	v_fmac_f16_e32 v17, 0xbaee, v21
	v_add_f16_e32 v13, v25, v23
	v_fmamk_f16 v21, v27, 0x3aee, v3
	v_fmac_f16_e32 v3, 0xbaee, v27
	v_fmamk_f16 v33, v32, 0x3aee, v14
	v_fmac_f16_e32 v14, 0xbaee, v32
	s_waitcnt lgkmcnt(0)
	s_barrier
	buffer_gl0_inv
	ds_write_b16 v26, v31
	ds_write_b16 v26, v33 offset:18
	ds_write_b16 v26, v14 offset:36
	ds_write_b16 v28, v29
	ds_write_b16 v28, v30 offset:18
	ds_write_b16 v28, v17 offset:36
	s_and_saveexec_b32 s1, s0
	s_cbranch_execz .LBB0_35
; %bb.34:
	v_mov_b32_e32 v14, 1
	v_lshlrev_b32_sdwa v17, v14, v22 dst_sel:DWORD dst_unused:UNUSED_PAD src0_sel:DWORD src1_sel:WORD_0
	v_lshlrev_b32_sdwa v14, v14, v24 dst_sel:DWORD dst_unused:UNUSED_PAD src0_sel:DWORD src1_sel:WORD_0
	v_add3_u32 v14, 0, v17, v14
	ds_write_b16 v14, v13
	ds_write_b16 v14, v21 offset:18
	ds_write_b16 v14, v3 offset:36
.LBB0_35:
	s_or_b32 exec_lo, exec_lo, s1
	s_waitcnt lgkmcnt(0)
	s_barrier
	buffer_gl0_inv
	ds_read_u16 v14, v5
	ds_read_u16 v23, v5 offset:3078
	ds_read_u16 v25, v5 offset:2592
	ds_read_u16 v24, v5 offset:1782
	ds_read_u16 v26, v5 offset:1296
	ds_read_u16 v17, v5 offset:486
	s_and_saveexec_b32 s1, s0
	s_cbranch_execz .LBB0_37
; %bb.36:
	ds_read_u16 v21, v5 offset:2268
	ds_read_u16 v13, v10 offset:972
	;; [unrolled: 1-line block ×3, first 2 shown]
.LBB0_37:
	s_or_b32 exec_lo, exec_lo, s1
	v_mov_b32_e32 v22, 0x2f69
	v_mul_lo_u16 v27, v0, 19
	v_mov_b32_e32 v31, 3
	v_mov_b32_e32 v37, 1
	v_mul_u32_u24_sdwa v28, v8, v22 dst_sel:DWORD dst_unused:UNUSED_PAD src0_sel:WORD_0 src1_sel:DWORD
	v_lshrrev_b16 v27, 9, v27
	v_mul_u32_u24_sdwa v22, v9, v22 dst_sel:DWORD dst_unused:UNUSED_PAD src0_sel:WORD_0 src1_sel:DWORD
	v_lshrrev_b32_e32 v28, 16, v28
	v_mul_lo_u16 v29, v27, 27
	v_lshrrev_b32_e32 v22, 16, v22
	v_sub_nc_u16 v30, v8, v28
	v_sub_nc_u16 v32, v4, v29
	;; [unrolled: 1-line block ×3, first 2 shown]
	v_lshrrev_b16 v30, 1, v30
	v_lshlrev_b32_sdwa v33, v31, v32 dst_sel:DWORD dst_unused:UNUSED_PAD src0_sel:DWORD src1_sel:BYTE_0
	v_lshrrev_b16 v34, 1, v29
	v_add_nc_u16 v28, v30, v28
	global_load_dwordx2 v[29:30], v33, s[8:9] offset:96
	v_add_nc_u16 v22, v34, v22
	v_lshrrev_b16 v34, 4, v28
	v_lshrrev_b16 v35, 4, v22
	v_mul_lo_u16 v22, v34, 27
	v_mul_lo_u16 v28, v35, 27
	v_sub_nc_u16 v36, v8, v22
	v_sub_nc_u16 v22, v9, v28
	v_lshlrev_b32_sdwa v28, v31, v36 dst_sel:DWORD dst_unused:UNUSED_PAD src0_sel:DWORD src1_sel:WORD_0
	v_lshlrev_b32_sdwa v31, v31, v22 dst_sel:DWORD dst_unused:UNUSED_PAD src0_sel:DWORD src1_sel:WORD_0
	s_clause 0x1
	global_load_dwordx2 v[38:39], v28, s[8:9] offset:96
	global_load_dwordx2 v[40:41], v31, s[8:9] offset:96
	v_lshlrev_b32_sdwa v28, v37, v32 dst_sel:DWORD dst_unused:UNUSED_PAD src0_sel:DWORD src1_sel:BYTE_0
	v_mov_b32_e32 v31, 0xa2
	s_waitcnt vmcnt(0) lgkmcnt(0)
	s_barrier
	buffer_gl0_inv
	v_mul_u32_u24_sdwa v27, v27, v31 dst_sel:DWORD dst_unused:UNUSED_PAD src0_sel:WORD_0 src1_sel:DWORD
	v_mul_u32_u24_sdwa v31, v34, v31 dst_sel:DWORD dst_unused:UNUSED_PAD src0_sel:WORD_0 src1_sel:DWORD
	v_add3_u32 v28, 0, v27, v28
	v_mul_lo_u16 v27, 0x51, v35
	v_mul_f16_sdwa v32, v26, v29 dst_sel:DWORD dst_unused:UNUSED_PAD src0_sel:DWORD src1_sel:WORD_1
	v_mul_f16_sdwa v33, v25, v30 dst_sel:DWORD dst_unused:UNUSED_PAD src0_sel:DWORD src1_sel:WORD_1
	;; [unrolled: 1-line block ×4, first 2 shown]
	v_fmac_f16_e32 v32, v20, v29
	v_fmac_f16_e32 v33, v19, v30
	v_fma_f16 v20, v26, v29, -v42
	v_fma_f16 v19, v25, v30, -v43
	v_lshlrev_b32_sdwa v26, v37, v36 dst_sel:DWORD dst_unused:UNUSED_PAD src0_sel:DWORD src1_sel:WORD_0
	v_add_f16_e32 v29, v12, v32
	v_add_f16_e32 v25, v32, v33
	v_sub_f16_e32 v30, v20, v19
	v_add_f16_e32 v29, v29, v33
	v_fmac_f16_e32 v12, -0.5, v25
	v_add3_u32 v25, 0, v31, v26
	ds_write_b16 v28, v29
	v_fmamk_f16 v42, v30, 0xbaee, v12
	v_fmac_f16_e32 v12, 0x3aee, v30
	v_mul_f16_sdwa v29, v24, v38 dst_sel:DWORD dst_unused:UNUSED_PAD src0_sel:DWORD src1_sel:WORD_1
	v_mul_f16_sdwa v31, v21, v40 dst_sel:DWORD dst_unused:UNUSED_PAD src0_sel:DWORD src1_sel:WORD_1
	;; [unrolled: 1-line block ×7, first 2 shown]
	v_fmac_f16_e32 v31, v11, v40
	v_fmac_f16_e32 v34, v1, v41
	v_mul_f16_sdwa v35, v16, v39 dst_sel:DWORD dst_unused:UNUSED_PAD src0_sel:DWORD src1_sel:WORD_1
	v_fmac_f16_e32 v29, v18, v38
	v_fmac_f16_e32 v30, v16, v39
	v_fma_f16 v36, v24, v38, -v26
	v_fma_f16 v26, v21, v40, -v43
	;; [unrolled: 1-line block ×3, first 2 shown]
	v_add_f16_e32 v3, v31, v34
	v_fma_f16 v35, v23, v39, -v35
	v_add_f16_e32 v11, v29, v30
	v_add_f16_e32 v18, v15, v29
	v_sub_f16_e32 v16, v26, v1
	v_fma_f16 v3, -0.5, v3, v2
	v_sub_f16_e32 v21, v36, v35
	v_fmac_f16_e32 v15, -0.5, v11
	v_add_f16_e32 v18, v18, v30
	ds_write_b16 v28, v42 offset:54
	v_fmamk_f16 v11, v16, 0x3aee, v3
	v_fmamk_f16 v23, v21, 0xbaee, v15
	v_fmac_f16_e32 v15, 0x3aee, v21
	ds_write_b16 v28, v12 offset:108
	ds_write_b16 v25, v18
	ds_write_b16 v25, v23 offset:54
	ds_write_b16 v25, v15 offset:108
	s_and_saveexec_b32 s1, s0
	s_cbranch_execz .LBB0_39
; %bb.38:
	v_add_f16_e32 v2, v2, v31
	v_lshlrev_b32_sdwa v12, v37, v22 dst_sel:DWORD dst_unused:UNUSED_PAD src0_sel:DWORD src1_sel:WORD_0
	v_lshlrev_b32_sdwa v15, v37, v27 dst_sel:DWORD dst_unused:UNUSED_PAD src0_sel:DWORD src1_sel:WORD_0
	v_mul_f16_e32 v16, 0x3aee, v16
	v_add_f16_e32 v2, v2, v34
	v_add3_u32 v12, 0, v12, v15
	v_sub_f16_e32 v3, v3, v16
	ds_write_b16 v12, v2
	ds_write_b16 v12, v3 offset:54
	ds_write_b16 v12, v11 offset:108
.LBB0_39:
	s_or_b32 exec_lo, exec_lo, s1
	v_add_f16_e32 v3, v14, v20
	v_add_f16_e32 v2, v20, v19
	s_waitcnt lgkmcnt(0)
	s_barrier
	buffer_gl0_inv
	v_add_f16_e32 v37, v3, v19
	ds_read_u16 v16, v5
	ds_read_u16 v23, v5 offset:486
	ds_read_u16 v21, v5 offset:1458
	;; [unrolled: 1-line block ×7, first 2 shown]
	v_sub_f16_e32 v12, v32, v33
	v_add_f16_e32 v33, v26, v1
	v_add_f16_e32 v32, v36, v35
	v_fmac_f16_e32 v14, -0.5, v2
	v_sub_f16_e32 v3, v31, v34
	v_add_f16_e32 v36, v17, v36
	v_fma_f16 v2, -0.5, v33, v13
	v_fmac_f16_e32 v17, -0.5, v32
	v_sub_f16_e32 v29, v29, v30
	v_fmamk_f16 v38, v12, 0x3aee, v14
	v_fmac_f16_e32 v14, 0xbaee, v12
	v_fmamk_f16 v12, v3, 0xbaee, v2
	v_add_f16_e32 v30, v36, v35
	v_fmamk_f16 v31, v29, 0x3aee, v17
	v_fmac_f16_e32 v17, 0xbaee, v29
	s_waitcnt lgkmcnt(0)
	s_barrier
	buffer_gl0_inv
	ds_write_b16 v28, v37
	ds_write_b16 v28, v38 offset:54
	ds_write_b16 v28, v14 offset:108
	ds_write_b16 v25, v30
	ds_write_b16 v25, v31 offset:54
	ds_write_b16 v25, v17 offset:108
	s_and_saveexec_b32 s1, s0
	s_cbranch_execz .LBB0_41
; %bb.40:
	v_mov_b32_e32 v14, 1
	v_add_f16_e32 v13, v13, v26
	v_mul_f16_e32 v3, 0x3aee, v3
	v_lshlrev_b32_sdwa v17, v14, v22 dst_sel:DWORD dst_unused:UNUSED_PAD src0_sel:DWORD src1_sel:WORD_0
	v_lshlrev_b32_sdwa v14, v14, v27 dst_sel:DWORD dst_unused:UNUSED_PAD src0_sel:DWORD src1_sel:WORD_0
	v_add_f16_e32 v1, v13, v1
	v_add_f16_e32 v2, v3, v2
	v_add3_u32 v13, 0, v17, v14
	ds_write_b16 v13, v1
	ds_write_b16 v13, v2 offset:54
	ds_write_b16 v13, v12 offset:108
.LBB0_41:
	s_or_b32 exec_lo, exec_lo, s1
	v_mul_lo_u16 v0, 0xcb, v0
	v_mov_b32_e32 v1, 7
	s_waitcnt lgkmcnt(0)
	s_barrier
	buffer_gl0_inv
	v_lshrrev_b16 v13, 14, v0
	v_mov_b32_e32 v25, 0x510
	v_mov_b32_e32 v26, 1
	v_mul_lo_u16 v0, 0x51, v13
	v_mul_u32_u24_sdwa v13, v13, v25 dst_sel:DWORD dst_unused:UNUSED_PAD src0_sel:WORD_0 src1_sel:DWORD
	v_sub_nc_u16 v14, v4, v0
	v_mul_u32_u24_sdwa v0, v14, v1 dst_sel:DWORD dst_unused:UNUSED_PAD src0_sel:BYTE_0 src1_sel:DWORD
	v_lshlrev_b32_sdwa v14, v26, v14 dst_sel:DWORD dst_unused:UNUSED_PAD src0_sel:DWORD src1_sel:BYTE_0
	v_lshlrev_b32_e32 v17, 2, v0
	v_add3_u32 v25, 0, v13, v14
	s_clause 0x1
	global_load_dwordx4 v[0:3], v17, s[8:9] offset:312
	global_load_dwordx3 v[27:29], v17, s[8:9] offset:328
	ds_read_u16 v22, v5 offset:486
	ds_read_u16 v30, v10 offset:972
	;; [unrolled: 1-line block ×7, first 2 shown]
	ds_read_u16 v26, v5
	s_waitcnt vmcnt(0) lgkmcnt(0)
	s_barrier
	buffer_gl0_inv
	v_mul_f16_sdwa v13, v22, v0 dst_sel:DWORD dst_unused:UNUSED_PAD src0_sel:DWORD src1_sel:WORD_1
	v_mul_f16_sdwa v14, v23, v0 dst_sel:DWORD dst_unused:UNUSED_PAD src0_sel:DWORD src1_sel:WORD_1
	;; [unrolled: 1-line block ×13, first 2 shown]
	v_fmac_f16_e32 v13, v23, v0
	v_fma_f16 v14, v22, v0, -v14
	v_fmac_f16_e32 v35, v24, v1
	v_fma_f16 v0, v30, v1, -v36
	;; [unrolled: 2-line block ×3, first 2 shown]
	v_fmac_f16_e32 v39, v15, v3
	v_fmac_f16_e32 v40, v20, v27
	v_fma_f16 v20, v32, v27, -v41
	v_fmac_f16_e32 v42, v18, v28
	v_fma_f16 v18, v33, v28, -v43
	;; [unrolled: 2-line block ×3, first 2 shown]
	v_sub_f16_e32 v21, v16, v39
	v_sub_f16_e32 v2, v35, v42
	;; [unrolled: 1-line block ×7, first 2 shown]
	v_fma_f16 v16, v16, 2.0, -v21
	v_fma_f16 v27, v35, 2.0, -v2
	;; [unrolled: 1-line block ×5, first 2 shown]
	v_add_f16_e32 v28, v21, v23
	v_fma_f16 v29, v1, 2.0, -v19
	v_add_f16_e32 v31, v18, v19
	v_sub_f16_e32 v32, v20, v22
	v_sub_f16_e32 v19, v16, v27
	v_fma_f16 v21, v21, 2.0, -v28
	v_sub_f16_e32 v1, v13, v14
	v_sub_f16_e32 v27, v24, v29
	v_fma_f16 v29, v18, 2.0, -v31
	v_fmamk_f16 v14, v31, 0x39a8, v28
	v_fma_f16 v30, v20, 2.0, -v32
	v_fma_f16 v16, v16, 2.0, -v19
	;; [unrolled: 1-line block ×3, first 2 shown]
	v_fmamk_f16 v20, v29, 0xb9a8, v21
	v_add_f16_e32 v13, v19, v27
	v_fmac_f16_e32 v14, 0x39a8, v32
	ds_write_b16 v25, v13 offset:972
	ds_write_b16 v25, v14 offset:1134
	v_sub_f16_e32 v18, v16, v18
	v_fmac_f16_e32 v20, 0x39a8, v30
	v_fma_f16 v19, v19, 2.0, -v13
	v_fma_f16 v22, v28, 2.0, -v14
	v_mul_f16_e32 v28, 0x39a8, v29
	v_fma_f16 v16, v16, 2.0, -v18
	v_fma_f16 v21, v21, 2.0, -v20
	ds_write_b16 v25, v19 offset:324
	ds_write_b16 v25, v22 offset:486
	;; [unrolled: 1-line block ×4, first 2 shown]
	ds_write_b16 v25, v16
	ds_write_b16 v25, v21 offset:162
	s_waitcnt lgkmcnt(0)
	s_barrier
	buffer_gl0_inv
	ds_read_u16 v16, v5
	ds_read_u16 v21, v5 offset:3078
	ds_read_u16 v18, v5 offset:2592
	;; [unrolled: 1-line block ×5, first 2 shown]
	v_mul_f16_e32 v30, 0x39a8, v30
	v_mul_f16_e32 v29, 0x39a8, v31
	;; [unrolled: 1-line block ×3, first 2 shown]
	s_and_saveexec_b32 s1, s0
	s_cbranch_execz .LBB0_43
; %bb.42:
	ds_read_u16 v14, v5 offset:2268
	ds_read_u16 v13, v10 offset:972
	;; [unrolled: 1-line block ×3, first 2 shown]
.LBB0_43:
	s_or_b32 exec_lo, exec_lo, s1
	v_mul_f16_sdwa v15, v15, v3 dst_sel:DWORD dst_unused:UNUSED_PAD src0_sel:DWORD src1_sel:WORD_1
	v_fma_f16 v0, v0, 2.0, -v23
	v_fma_f16 v23, v24, 2.0, -v27
	s_waitcnt lgkmcnt(0)
	s_barrier
	v_fma_f16 v3, v17, v3, -v15
	buffer_gl0_inv
	v_sub_f16_e32 v3, v26, v3
	v_fma_f16 v15, v26, 2.0, -v3
	v_sub_f16_e32 v2, v3, v2
	v_sub_f16_e32 v0, v15, v0
	v_fma_f16 v3, v3, 2.0, -v2
	v_add_f16_e32 v17, v2, v31
	v_fma_f16 v24, v15, 2.0, -v0
	v_sub_f16_e32 v26, v3, v30
	v_sub_f16_e32 v15, v0, v1
	;; [unrolled: 1-line block ×3, first 2 shown]
	ds_write_b16 v25, v15 offset:972
	ds_write_b16 v25, v17 offset:1134
	v_sub_f16_e32 v1, v24, v23
	v_sub_f16_e32 v23, v26, v28
	v_fma_f16 v0, v0, 2.0, -v15
	v_fma_f16 v2, v2, 2.0, -v17
	;; [unrolled: 1-line block ×4, first 2 shown]
	ds_write_b16 v25, v0 offset:324
	ds_write_b16 v25, v2 offset:486
	;; [unrolled: 1-line block ×4, first 2 shown]
	ds_write_b16 v25, v24
	ds_write_b16 v25, v3 offset:162
	s_waitcnt lgkmcnt(0)
	s_barrier
	buffer_gl0_inv
	ds_read_u16 v23, v5
	ds_read_u16 v27, v5 offset:3078
	ds_read_u16 v24, v5 offset:2592
	;; [unrolled: 1-line block ×5, first 2 shown]
	s_and_saveexec_b32 s1, s0
	s_cbranch_execz .LBB0_45
; %bb.44:
	ds_read_u16 v17, v5 offset:2268
	ds_read_u16 v15, v10 offset:972
	;; [unrolled: 1-line block ×3, first 2 shown]
.LBB0_45:
	s_or_b32 exec_lo, exec_lo, s1
	s_and_saveexec_b32 s1, vcc_lo
	s_cbranch_execz .LBB0_48
; %bb.46:
	v_lshlrev_b32_e32 v0, 1, v8
	v_mov_b32_e32 v1, 0
	v_lshlrev_b64 v[2:3], 2, v[0:1]
	v_lshlrev_b32_e32 v0, 1, v4
	v_mov_b32_e32 v5, v1
	v_lshlrev_b64 v[29:30], 2, v[0:1]
	v_add_co_u32 v2, vcc_lo, s8, v2
	v_add_co_ci_u32_e32 v3, vcc_lo, s9, v3, vcc_lo
	v_add_co_u32 v2, vcc_lo, 0x800, v2
	v_add_co_ci_u32_e32 v3, vcc_lo, 0, v3, vcc_lo
	v_add_co_u32 v0, vcc_lo, s8, v29
	global_load_dwordx2 v[31:32], v[2:3], off offset:532
	v_add_co_ci_u32_e32 v3, vcc_lo, s9, v30, vcc_lo
	v_add_co_u32 v2, vcc_lo, 0x800, v0
	v_add_co_ci_u32_e32 v3, vcc_lo, 0, v3, vcc_lo
	v_add_co_u32 v0, vcc_lo, s2, v6
	global_load_dwordx2 v[29:30], v[2:3], off offset:532
	v_lshlrev_b64 v[2:3], 2, v[4:5]
	v_add_co_ci_u32_e32 v5, vcc_lo, s3, v7, vcc_lo
	v_add_co_u32 v2, vcc_lo, v0, v2
	v_add_co_ci_u32_e32 v3, vcc_lo, v5, v3, vcc_lo
	v_add_co_u32 v33, vcc_lo, 0x800, v2
	;; [unrolled: 2-line block ×3, first 2 shown]
	v_add_co_ci_u32_e32 v6, vcc_lo, 0, v3, vcc_lo
	s_waitcnt vmcnt(1)
	v_mul_f16_sdwa v0, v22, v31 dst_sel:DWORD dst_unused:UNUSED_PAD src0_sel:DWORD src1_sel:WORD_1
	v_mul_f16_sdwa v7, v21, v32 dst_sel:DWORD dst_unused:UNUSED_PAD src0_sel:DWORD src1_sel:WORD_1
	s_waitcnt lgkmcnt(2)
	v_mul_f16_sdwa v8, v28, v31 dst_sel:DWORD dst_unused:UNUSED_PAD src0_sel:DWORD src1_sel:WORD_1
	v_mul_f16_sdwa v10, v27, v32 dst_sel:DWORD dst_unused:UNUSED_PAD src0_sel:DWORD src1_sel:WORD_1
	v_fma_f16 v0, v28, v31, -v0
	v_fma_f16 v7, v27, v32, -v7
	v_fmac_f16_e32 v8, v22, v31
	v_fmac_f16_e32 v10, v21, v32
	s_waitcnt vmcnt(0)
	v_mul_f16_sdwa v21, v20, v29 dst_sel:DWORD dst_unused:UNUSED_PAD src0_sel:DWORD src1_sel:WORD_1
	v_mul_f16_sdwa v22, v18, v30 dst_sel:DWORD dst_unused:UNUSED_PAD src0_sel:DWORD src1_sel:WORD_1
	s_waitcnt lgkmcnt(1)
	v_mul_f16_sdwa v27, v26, v29 dst_sel:DWORD dst_unused:UNUSED_PAD src0_sel:DWORD src1_sel:WORD_1
	v_mul_f16_sdwa v28, v24, v30 dst_sel:DWORD dst_unused:UNUSED_PAD src0_sel:DWORD src1_sel:WORD_1
	v_add_f16_e32 v31, v0, v7
	v_sub_f16_e32 v32, v8, v10
	v_add_f16_e32 v35, v8, v10
	v_sub_f16_e32 v36, v0, v7
	s_waitcnt lgkmcnt(0)
	v_add_f16_e32 v0, v25, v0
	v_add_f16_e32 v8, v19, v8
	v_fma_f16 v21, v26, v29, -v21
	v_fma_f16 v22, v24, v30, -v22
	v_fmac_f16_e32 v27, v20, v29
	v_fmac_f16_e32 v28, v18, v30
	v_add_f16_e32 v0, v0, v7
	v_add_f16_e32 v7, v8, v10
	v_add_f16_e32 v8, v21, v22
	v_fma_f16 v18, -0.5, v31, v25
	v_add_f16_e32 v20, v27, v28
	v_sub_f16_e32 v24, v21, v22
	v_add_f16_e32 v21, v23, v21
	v_add_f16_e32 v25, v16, v27
	v_fma_f16 v19, -0.5, v35, v19
	v_sub_f16_e32 v10, v27, v28
	v_fma_f16 v23, -0.5, v8, v23
	v_fma_f16 v16, -0.5, v20, v16
	v_add_f16_e32 v20, v21, v22
	v_add_f16_e32 v21, v25, v28
	v_fmamk_f16 v26, v32, 0xbaee, v18
	v_fmamk_f16 v27, v36, 0x3aee, v19
	v_fmac_f16_e32 v18, 0x3aee, v32
	v_fmac_f16_e32 v19, 0xbaee, v36
	v_pack_b32_f16 v0, v7, v0
	v_fmamk_f16 v22, v10, 0xbaee, v23
	v_fmamk_f16 v25, v24, 0x3aee, v16
	v_fmac_f16_e32 v23, 0x3aee, v10
	v_fmac_f16_e32 v16, 0xbaee, v24
	v_add_co_u32 v7, vcc_lo, 0x1800, v2
	v_add_co_ci_u32_e32 v8, vcc_lo, 0, v3, vcc_lo
	v_pack_b32_f16 v10, v21, v20
	global_store_dword v[2:3], v0, off offset:972
	v_pack_b32_f16 v0, v19, v18
	v_pack_b32_f16 v16, v16, v23
	;; [unrolled: 1-line block ×4, first 2 shown]
	global_store_dword v[2:3], v10, off
	global_store_dword v[33:34], v0, off offset:1516
	global_store_dword v[33:34], v16, off offset:544
	;; [unrolled: 1-line block ×4, first 2 shown]
	s_and_b32 exec_lo, exec_lo, s0
	s_cbranch_execz .LBB0_48
; %bb.47:
	v_add_nc_u32_e32 v0, 0xffffff5e, v4
	v_cndmask_b32_e64 v0, v0, v9, s0
	v_lshlrev_b32_e32 v0, 1, v0
	v_lshlrev_b64 v[0:1], 2, v[0:1]
	v_add_co_u32 v0, vcc_lo, s8, v0
	v_add_co_ci_u32_e32 v1, vcc_lo, s9, v1, vcc_lo
	v_add_co_u32 v0, vcc_lo, 0x800, v0
	v_add_co_ci_u32_e32 v1, vcc_lo, 0, v1, vcc_lo
	global_load_dwordx2 v[0:1], v[0:1], off offset:532
	s_waitcnt vmcnt(0)
	v_mul_f16_sdwa v4, v17, v0 dst_sel:DWORD dst_unused:UNUSED_PAD src0_sel:DWORD src1_sel:WORD_1
	v_mul_f16_sdwa v9, v12, v1 dst_sel:DWORD dst_unused:UNUSED_PAD src0_sel:DWORD src1_sel:WORD_1
	;; [unrolled: 1-line block ×4, first 2 shown]
	v_fmac_f16_e32 v4, v14, v0
	v_fmac_f16_e32 v9, v11, v1
	v_fma_f16 v0, v17, v0, -v10
	v_fma_f16 v1, v12, v1, -v16
	v_add_f16_e32 v11, v13, v4
	v_add_f16_e32 v10, v4, v9
	v_sub_f16_e32 v4, v4, v9
	v_add_f16_e32 v12, v0, v1
	v_sub_f16_e32 v14, v0, v1
	v_add_f16_e32 v0, v15, v0
	v_fmac_f16_e32 v13, -0.5, v10
	v_add_f16_e32 v9, v11, v9
	v_fmac_f16_e32 v15, -0.5, v12
	v_add_f16_e32 v0, v0, v1
	v_fmamk_f16 v1, v14, 0xbaee, v13
	v_fmac_f16_e32 v13, 0x3aee, v14
	v_fmamk_f16 v10, v4, 0x3aee, v15
	v_fmac_f16_e32 v15, 0xbaee, v4
	v_pack_b32_f16 v0, v9, v0
	v_pack_b32_f16 v1, v1, v10
	;; [unrolled: 1-line block ×3, first 2 shown]
	global_store_dword v[2:3], v0, off offset:1944
	global_store_dword v[5:6], v1, off offset:440
	;; [unrolled: 1-line block ×3, first 2 shown]
.LBB0_48:
	s_endpgm
	.section	.rodata,"a",@progbits
	.p2align	6, 0x0
	.amdhsa_kernel fft_rtc_back_len1944_factors_3_3_3_3_8_3_wgs_243_tpt_243_halfLds_half_ip_CI_unitstride_sbrr_dirReg
		.amdhsa_group_segment_fixed_size 0
		.amdhsa_private_segment_fixed_size 0
		.amdhsa_kernarg_size 88
		.amdhsa_user_sgpr_count 6
		.amdhsa_user_sgpr_private_segment_buffer 1
		.amdhsa_user_sgpr_dispatch_ptr 0
		.amdhsa_user_sgpr_queue_ptr 0
		.amdhsa_user_sgpr_kernarg_segment_ptr 1
		.amdhsa_user_sgpr_dispatch_id 0
		.amdhsa_user_sgpr_flat_scratch_init 0
		.amdhsa_user_sgpr_private_segment_size 0
		.amdhsa_wavefront_size32 1
		.amdhsa_uses_dynamic_stack 0
		.amdhsa_system_sgpr_private_segment_wavefront_offset 0
		.amdhsa_system_sgpr_workgroup_id_x 1
		.amdhsa_system_sgpr_workgroup_id_y 0
		.amdhsa_system_sgpr_workgroup_id_z 0
		.amdhsa_system_sgpr_workgroup_info 0
		.amdhsa_system_vgpr_workitem_id 0
		.amdhsa_next_free_vgpr 49
		.amdhsa_next_free_sgpr 21
		.amdhsa_reserve_vcc 1
		.amdhsa_reserve_flat_scratch 0
		.amdhsa_float_round_mode_32 0
		.amdhsa_float_round_mode_16_64 0
		.amdhsa_float_denorm_mode_32 3
		.amdhsa_float_denorm_mode_16_64 3
		.amdhsa_dx10_clamp 1
		.amdhsa_ieee_mode 1
		.amdhsa_fp16_overflow 0
		.amdhsa_workgroup_processor_mode 1
		.amdhsa_memory_ordered 1
		.amdhsa_forward_progress 0
		.amdhsa_shared_vgpr_count 0
		.amdhsa_exception_fp_ieee_invalid_op 0
		.amdhsa_exception_fp_denorm_src 0
		.amdhsa_exception_fp_ieee_div_zero 0
		.amdhsa_exception_fp_ieee_overflow 0
		.amdhsa_exception_fp_ieee_underflow 0
		.amdhsa_exception_fp_ieee_inexact 0
		.amdhsa_exception_int_div_zero 0
	.end_amdhsa_kernel
	.text
.Lfunc_end0:
	.size	fft_rtc_back_len1944_factors_3_3_3_3_8_3_wgs_243_tpt_243_halfLds_half_ip_CI_unitstride_sbrr_dirReg, .Lfunc_end0-fft_rtc_back_len1944_factors_3_3_3_3_8_3_wgs_243_tpt_243_halfLds_half_ip_CI_unitstride_sbrr_dirReg
                                        ; -- End function
	.section	.AMDGPU.csdata,"",@progbits
; Kernel info:
; codeLenInByte = 7132
; NumSgprs: 23
; NumVgprs: 49
; ScratchSize: 0
; MemoryBound: 0
; FloatMode: 240
; IeeeMode: 1
; LDSByteSize: 0 bytes/workgroup (compile time only)
; SGPRBlocks: 2
; VGPRBlocks: 6
; NumSGPRsForWavesPerEU: 23
; NumVGPRsForWavesPerEU: 49
; Occupancy: 16
; WaveLimiterHint : 1
; COMPUTE_PGM_RSRC2:SCRATCH_EN: 0
; COMPUTE_PGM_RSRC2:USER_SGPR: 6
; COMPUTE_PGM_RSRC2:TRAP_HANDLER: 0
; COMPUTE_PGM_RSRC2:TGID_X_EN: 1
; COMPUTE_PGM_RSRC2:TGID_Y_EN: 0
; COMPUTE_PGM_RSRC2:TGID_Z_EN: 0
; COMPUTE_PGM_RSRC2:TIDIG_COMP_CNT: 0
	.text
	.p2alignl 6, 3214868480
	.fill 48, 4, 3214868480
	.type	__hip_cuid_e0ec0dac25b5cdb3,@object ; @__hip_cuid_e0ec0dac25b5cdb3
	.section	.bss,"aw",@nobits
	.globl	__hip_cuid_e0ec0dac25b5cdb3
__hip_cuid_e0ec0dac25b5cdb3:
	.byte	0                               ; 0x0
	.size	__hip_cuid_e0ec0dac25b5cdb3, 1

	.ident	"AMD clang version 19.0.0git (https://github.com/RadeonOpenCompute/llvm-project roc-6.4.0 25133 c7fe45cf4b819c5991fe208aaa96edf142730f1d)"
	.section	".note.GNU-stack","",@progbits
	.addrsig
	.addrsig_sym __hip_cuid_e0ec0dac25b5cdb3
	.amdgpu_metadata
---
amdhsa.kernels:
  - .args:
      - .actual_access:  read_only
        .address_space:  global
        .offset:         0
        .size:           8
        .value_kind:     global_buffer
      - .offset:         8
        .size:           8
        .value_kind:     by_value
      - .actual_access:  read_only
        .address_space:  global
        .offset:         16
        .size:           8
        .value_kind:     global_buffer
      - .actual_access:  read_only
        .address_space:  global
        .offset:         24
        .size:           8
        .value_kind:     global_buffer
      - .offset:         32
        .size:           8
        .value_kind:     by_value
      - .actual_access:  read_only
        .address_space:  global
        .offset:         40
        .size:           8
        .value_kind:     global_buffer
      - .actual_access:  read_only
        .address_space:  global
        .offset:         48
        .size:           8
        .value_kind:     global_buffer
      - .offset:         56
        .size:           4
        .value_kind:     by_value
      - .actual_access:  read_only
        .address_space:  global
        .offset:         64
        .size:           8
        .value_kind:     global_buffer
      - .actual_access:  read_only
        .address_space:  global
        .offset:         72
        .size:           8
        .value_kind:     global_buffer
      - .address_space:  global
        .offset:         80
        .size:           8
        .value_kind:     global_buffer
    .group_segment_fixed_size: 0
    .kernarg_segment_align: 8
    .kernarg_segment_size: 88
    .language:       OpenCL C
    .language_version:
      - 2
      - 0
    .max_flat_workgroup_size: 243
    .name:           fft_rtc_back_len1944_factors_3_3_3_3_8_3_wgs_243_tpt_243_halfLds_half_ip_CI_unitstride_sbrr_dirReg
    .private_segment_fixed_size: 0
    .sgpr_count:     23
    .sgpr_spill_count: 0
    .symbol:         fft_rtc_back_len1944_factors_3_3_3_3_8_3_wgs_243_tpt_243_halfLds_half_ip_CI_unitstride_sbrr_dirReg.kd
    .uniform_work_group_size: 1
    .uses_dynamic_stack: false
    .vgpr_count:     49
    .vgpr_spill_count: 0
    .wavefront_size: 32
    .workgroup_processor_mode: 1
amdhsa.target:   amdgcn-amd-amdhsa--gfx1030
amdhsa.version:
  - 1
  - 2
...

	.end_amdgpu_metadata
